;; amdgpu-corpus repo=zjin-lcf/HeCBench kind=compiled arch=gfx1100 opt=O3
	.text
	.amdgcn_target "amdgcn-amd-amdhsa--gfx1100"
	.amdhsa_code_object_version 6
	.protected	_Z11jacobi_stepPfPKfS_  ; -- Begin function _Z11jacobi_stepPfPKfS_
	.globl	_Z11jacobi_stepPfPKfS_
	.p2align	8
	.type	_Z11jacobi_stepPfPKfS_,@function
_Z11jacobi_stepPfPKfS_:                 ; @_Z11jacobi_stepPfPKfS_
; %bb.0:
	s_clause 0x1
	s_load_b32 s2, s[0:1], 0x24
	s_load_b64 s[6:7], s[0:1], 0x8
	v_and_b32_e32 v7, 0x3ff, v0
	v_bfe_u32 v0, v0, 10, 10
	s_delay_alu instid0(VALU_DEP_1) | instskip(SKIP_3) | instid1(SALU_CYCLE_1)
	v_mul_u32_u24_e32 v11, 0x48, v0
	s_waitcnt lgkmcnt(0)
	s_lshr_b32 s3, s2, 16
	s_and_b32 s2, s2, 0xffff
	v_mad_u64_u32 v[3:4], null, s14, s2, v[7:8]
	v_mad_u64_u32 v[4:5], null, s15, s3, v[0:1]
	s_delay_alu instid0(VALU_DEP_2) | instskip(NEXT) | instid1(VALU_DEP_2)
	v_cmp_lt_i32_e64 s2, 0, v3
	v_lshl_add_u32 v5, v4, 11, v3
	s_delay_alu instid0(VALU_DEP_1) | instskip(NEXT) | instid1(VALU_DEP_1)
	v_ashrrev_i32_e32 v6, 31, v5
	v_lshlrev_b64 v[1:2], 2, v[5:6]
	v_lshlrev_b32_e32 v6, 2, v7
	s_delay_alu instid0(VALU_DEP_1) | instskip(NEXT) | instid1(VALU_DEP_3)
	v_mad_u32_u24 v10, 0x48, v0, v6
	v_add_co_u32 v8, vcc_lo, s6, v1
	s_delay_alu instid0(VALU_DEP_4)
	v_add_co_ci_u32_e32 v9, vcc_lo, s7, v2, vcc_lo
	v_cmp_eq_u32_e32 vcc_lo, 0, v7
	global_load_b32 v12, v[8:9], off
	s_and_b32 s2, vcc_lo, s2
	s_waitcnt vmcnt(0)
	ds_store_b32 v10, v12 offset:76
	s_and_saveexec_b32 s3, s2
	s_cbranch_execz .LBB0_2
; %bb.1:
	v_add_nc_u32_e32 v12, -1, v5
	s_delay_alu instid0(VALU_DEP_1) | instskip(NEXT) | instid1(VALU_DEP_1)
	v_ashrrev_i32_e32 v13, 31, v12
	v_lshlrev_b64 v[12:13], 2, v[12:13]
	s_delay_alu instid0(VALU_DEP_1) | instskip(NEXT) | instid1(VALU_DEP_1)
	v_add_co_u32 v12, s2, s6, v12
	v_add_co_ci_u32_e64 v13, s2, s7, v13, s2
	global_load_b32 v12, v[12:13], off
	s_waitcnt vmcnt(0)
	ds_store_b32 v11, v12 offset:72
.LBB0_2:
	s_or_b32 exec_lo, exec_lo, s3
	v_cmp_eq_u32_e64 s2, 15, v7
	v_cmp_gt_i32_e64 s3, 0x7ff, v3
	s_delay_alu instid0(VALU_DEP_1) | instskip(NEXT) | instid1(SALU_CYCLE_1)
	s_and_b32 s3, s2, s3
	s_and_saveexec_b32 s2, s3
	s_cbranch_execz .LBB0_4
; %bb.3:
	global_load_b32 v7, v[8:9], off offset:4
	s_waitcnt vmcnt(0)
	ds_store_b32 v11, v7 offset:140
.LBB0_4:
	s_or_b32 exec_lo, exec_lo, s2
	v_cmp_eq_u32_e64 s2, 0, v0
	v_cmp_lt_i32_e64 s3, 0, v4
	s_delay_alu instid0(VALU_DEP_1) | instskip(NEXT) | instid1(SALU_CYCLE_1)
	s_and_b32 s3, s2, s3
	s_and_saveexec_b32 s4, s3
	s_cbranch_execz .LBB0_6
; %bb.5:
	v_add_nc_u32_e32 v7, 0xfffff800, v5
	s_delay_alu instid0(VALU_DEP_1) | instskip(NEXT) | instid1(VALU_DEP_1)
	v_ashrrev_i32_e32 v8, 31, v7
	v_lshlrev_b64 v[7:8], 2, v[7:8]
	s_delay_alu instid0(VALU_DEP_1) | instskip(NEXT) | instid1(VALU_DEP_1)
	v_add_co_u32 v7, s3, s6, v7
	v_add_co_ci_u32_e64 v8, s3, s7, v8, s3
	global_load_b32 v7, v[7:8], off
	s_waitcnt vmcnt(0)
	ds_store_b32 v6, v7 offset:4
.LBB0_6:
	s_or_b32 exec_lo, exec_lo, s4
	v_cmp_eq_u32_e64 s3, 15, v0
	v_cmp_gt_i32_e64 s4, 0x7ff, v4
	s_delay_alu instid0(VALU_DEP_1) | instskip(NEXT) | instid1(SALU_CYCLE_1)
	s_and_b32 s3, s3, s4
	s_and_saveexec_b32 s4, s3
	s_cbranch_execz .LBB0_8
; %bb.7:
	v_add_nc_u32_e32 v7, 0x800, v5
	s_delay_alu instid0(VALU_DEP_1) | instskip(NEXT) | instid1(VALU_DEP_1)
	v_ashrrev_i32_e32 v8, 31, v7
	v_lshlrev_b64 v[7:8], 2, v[7:8]
	s_delay_alu instid0(VALU_DEP_1) | instskip(NEXT) | instid1(VALU_DEP_1)
	v_add_co_u32 v7, s3, s6, v7
	v_add_co_ci_u32_e64 v8, s3, s7, v8, s3
	global_load_b32 v5, v[7:8], off
	s_waitcnt vmcnt(0)
	ds_store_b32 v6, v5 offset:1228
.LBB0_8:
	s_or_b32 exec_lo, exec_lo, s4
	v_add_nc_u32_e32 v4, -1, v4
	v_add_nc_u32_e32 v3, -1, v3
	s_waitcnt lgkmcnt(0)
	s_barrier
	buffer_gl0_inv
	v_max_u32_e32 v3, v3, v4
	s_delay_alu instid0(VALU_DEP_1) | instskip(SKIP_1) | instid1(VALU_DEP_2)
	v_cmp_gt_u32_e64 s3, 0x7fe, v3
	v_mov_b32_e32 v3, 0
	s_and_saveexec_b32 s4, s3
	s_cbranch_execz .LBB0_10
; %bb.9:
	ds_load_2addr_b32 v[3:4], v10 offset0:1 offset1:20
	ds_load_2addr_b32 v[7:8], v10 offset0:18 offset1:19
	ds_load_b32 v5, v10 offset:148
	s_load_b64 s[6:7], s[0:1], 0x0
	s_waitcnt lgkmcnt(0)
	v_add_f32_e32 v4, v4, v7
	v_add_co_u32 v1, s3, s6, v1
	s_delay_alu instid0(VALU_DEP_1) | instskip(NEXT) | instid1(VALU_DEP_3)
	v_add_co_ci_u32_e64 v2, s3, s7, v2, s3
	v_add_f32_e32 v4, v4, v5
	s_delay_alu instid0(VALU_DEP_1) | instskip(NEXT) | instid1(VALU_DEP_1)
	v_add_f32_e32 v3, v4, v3
	v_mul_f32_e32 v4, 0x3e800000, v3
	v_fma_f32 v3, 0x3e800000, v3, -v8
	global_store_b32 v[1:2], v4, off
	v_mul_f32_e32 v3, v3, v3
.LBB0_10:
	s_or_b32 exec_lo, exec_lo, s4
	v_mbcnt_lo_u32_b32 v4, -1, 0
	s_delay_alu instid0(VALU_DEP_1) | instskip(NEXT) | instid1(VALU_DEP_1)
	v_cmp_gt_u32_e64 s3, 24, v4
	v_cndmask_b32_e64 v1, 0, 1, s3
	v_cmp_gt_u32_e64 s3, 28, v4
	s_delay_alu instid0(VALU_DEP_2) | instskip(NEXT) | instid1(VALU_DEP_2)
	v_lshlrev_b32_e32 v1, 3, v1
	v_cndmask_b32_e64 v2, 0, 1, s3
	v_cmp_gt_u32_e64 s3, 30, v4
	s_delay_alu instid0(VALU_DEP_3) | instskip(SKIP_3) | instid1(VALU_DEP_1)
	v_add_lshl_u32 v1, v1, v4, 2
	ds_bpermute_b32 v5, v1, v3
	s_waitcnt lgkmcnt(0)
	v_dual_add_f32 v5, v3, v5 :: v_dual_lshlrev_b32 v2, 2, v2
	v_add_lshl_u32 v2, v2, v4, 2
	v_cndmask_b32_e64 v3, 0, 1, s3
	v_cmp_ne_u32_e64 s3, 31, v4
	ds_bpermute_b32 v7, v2, v5
	v_lshlrev_b32_e32 v3, 1, v3
	s_delay_alu instid0(VALU_DEP_1) | instskip(SKIP_2) | instid1(VALU_DEP_1)
	v_add_lshl_u32 v3, v3, v4, 2
	v_add_co_ci_u32_e64 v4, s3, 0, v4, s3
	s_waitcnt lgkmcnt(0)
	v_dual_add_f32 v5, v5, v7 :: v_dual_lshlrev_b32 v4, 2, v4
	ds_bpermute_b32 v7, v3, v5
	s_waitcnt lgkmcnt(0)
	v_add_f32_e32 v5, v5, v7
	ds_bpermute_b32 v7, v4, v5
	s_and_saveexec_b32 s3, vcc_lo
	s_cbranch_execz .LBB0_12
; %bb.11:
	s_waitcnt lgkmcnt(0)
	v_dual_add_f32 v5, v5, v7 :: v_dual_lshlrev_b32 v0, 2, v0
	ds_store_b32 v0, v5 offset:1296
.LBB0_12:
	s_or_b32 exec_lo, exec_lo, s3
	s_waitcnt lgkmcnt(0)
	s_waitcnt_vscnt null, 0x0
	s_barrier
	buffer_gl0_inv
	s_and_saveexec_b32 s3, s2
	s_cbranch_execz .LBB0_19
; %bb.13:
	ds_load_b32 v0, v6 offset:1296
	s_waitcnt lgkmcnt(0)
	ds_bpermute_b32 v1, v1, v0
	s_waitcnt lgkmcnt(0)
	v_add_f32_e32 v0, v0, v1
	ds_bpermute_b32 v1, v2, v0
	s_waitcnt lgkmcnt(0)
	v_add_f32_e32 v0, v0, v1
	;; [unrolled: 3-line block ×3, first 2 shown]
	ds_bpermute_b32 v1, v4, v0
	s_and_b32 exec_lo, exec_lo, vcc_lo
	s_cbranch_execz .LBB0_19
; %bb.14:
	s_load_b64 s[0:1], s[0:1], 0x10
	s_waitcnt lgkmcnt(0)
	v_add_f32_e32 v0, v0, v1
	v_bfrev_b32_e32 v2, 1
	s_mov_b32 s2, exec_lo
.LBB0_15:                               ; =>This Inner Loop Header: Depth=1
	s_delay_alu instid0(SALU_CYCLE_1)
	s_ctz_i32_b32 s3, s2
	s_delay_alu instid0(VALU_DEP_2) | instid1(SALU_CYCLE_1)
	v_readlane_b32 s4, v0, s3
	s_lshl_b32 s3, 1, s3
	s_delay_alu instid0(SALU_CYCLE_1) | instskip(NEXT) | instid1(SALU_CYCLE_1)
	s_and_not1_b32 s2, s2, s3
	s_cmp_lg_u32 s2, 0
	s_delay_alu instid0(VALU_DEP_1)
	v_add_f32_e32 v2, s4, v2
	s_cbranch_scc1 .LBB0_15
; %bb.16:
	v_mbcnt_lo_u32_b32 v0, exec_lo, 0
	s_mov_b32 s2, 0
	s_mov_b32 s3, exec_lo
	s_delay_alu instid0(VALU_DEP_1)
	v_cmpx_eq_u32_e32 0, v0
	s_xor_b32 s3, exec_lo, s3
	s_cbranch_execz .LBB0_19
; %bb.17:
	s_load_b32 s3, s[0:1], 0x0
	v_mov_b32_e32 v3, 0
	s_waitcnt lgkmcnt(0)
	v_mov_b32_e32 v1, s3
.LBB0_18:                               ; =>This Inner Loop Header: Depth=1
	s_delay_alu instid0(VALU_DEP_1)
	v_add_f32_e32 v0, v1, v2
	global_atomic_cmpswap_b32 v0, v3, v[0:1], s[0:1] glc
	s_waitcnt vmcnt(0)
	v_cmp_eq_u32_e32 vcc_lo, v0, v1
	v_mov_b32_e32 v1, v0
	s_or_b32 s2, vcc_lo, s2
	s_delay_alu instid0(SALU_CYCLE_1)
	s_and_not1_b32 exec_lo, exec_lo, s2
	s_cbranch_execnz .LBB0_18
.LBB0_19:
	s_endpgm
	.section	.rodata,"a",@progbits
	.p2align	6, 0x0
	.amdhsa_kernel _Z11jacobi_stepPfPKfS_
		.amdhsa_group_segment_fixed_size 1360
		.amdhsa_private_segment_fixed_size 0
		.amdhsa_kernarg_size 280
		.amdhsa_user_sgpr_count 14
		.amdhsa_user_sgpr_dispatch_ptr 0
		.amdhsa_user_sgpr_queue_ptr 0
		.amdhsa_user_sgpr_kernarg_segment_ptr 1
		.amdhsa_user_sgpr_dispatch_id 0
		.amdhsa_user_sgpr_private_segment_size 0
		.amdhsa_wavefront_size32 1
		.amdhsa_uses_dynamic_stack 0
		.amdhsa_enable_private_segment 0
		.amdhsa_system_sgpr_workgroup_id_x 1
		.amdhsa_system_sgpr_workgroup_id_y 1
		.amdhsa_system_sgpr_workgroup_id_z 0
		.amdhsa_system_sgpr_workgroup_info 0
		.amdhsa_system_vgpr_workitem_id 1
		.amdhsa_next_free_vgpr 14
		.amdhsa_next_free_sgpr 16
		.amdhsa_reserve_vcc 1
		.amdhsa_float_round_mode_32 0
		.amdhsa_float_round_mode_16_64 0
		.amdhsa_float_denorm_mode_32 3
		.amdhsa_float_denorm_mode_16_64 3
		.amdhsa_dx10_clamp 1
		.amdhsa_ieee_mode 1
		.amdhsa_fp16_overflow 0
		.amdhsa_workgroup_processor_mode 1
		.amdhsa_memory_ordered 1
		.amdhsa_forward_progress 0
		.amdhsa_shared_vgpr_count 0
		.amdhsa_exception_fp_ieee_invalid_op 0
		.amdhsa_exception_fp_denorm_src 0
		.amdhsa_exception_fp_ieee_div_zero 0
		.amdhsa_exception_fp_ieee_overflow 0
		.amdhsa_exception_fp_ieee_underflow 0
		.amdhsa_exception_fp_ieee_inexact 0
		.amdhsa_exception_int_div_zero 0
	.end_amdhsa_kernel
	.text
.Lfunc_end0:
	.size	_Z11jacobi_stepPfPKfS_, .Lfunc_end0-_Z11jacobi_stepPfPKfS_
                                        ; -- End function
	.section	.AMDGPU.csdata,"",@progbits
; Kernel info:
; codeLenInByte = 1172
; NumSgprs: 18
; NumVgprs: 14
; ScratchSize: 0
; MemoryBound: 0
; FloatMode: 240
; IeeeMode: 1
; LDSByteSize: 1360 bytes/workgroup (compile time only)
; SGPRBlocks: 2
; VGPRBlocks: 1
; NumSGPRsForWavesPerEU: 18
; NumVGPRsForWavesPerEU: 14
; Occupancy: 16
; WaveLimiterHint : 0
; COMPUTE_PGM_RSRC2:SCRATCH_EN: 0
; COMPUTE_PGM_RSRC2:USER_SGPR: 14
; COMPUTE_PGM_RSRC2:TRAP_HANDLER: 0
; COMPUTE_PGM_RSRC2:TGID_X_EN: 1
; COMPUTE_PGM_RSRC2:TGID_Y_EN: 1
; COMPUTE_PGM_RSRC2:TGID_Z_EN: 0
; COMPUTE_PGM_RSRC2:TIDIG_COMP_CNT: 1
	.text
	.p2alignl 7, 3214868480
	.fill 96, 4, 3214868480
	.type	__hip_cuid_36f726ba0dc7d5d9,@object ; @__hip_cuid_36f726ba0dc7d5d9
	.section	.bss,"aw",@nobits
	.globl	__hip_cuid_36f726ba0dc7d5d9
__hip_cuid_36f726ba0dc7d5d9:
	.byte	0                               ; 0x0
	.size	__hip_cuid_36f726ba0dc7d5d9, 1

	.ident	"AMD clang version 19.0.0git (https://github.com/RadeonOpenCompute/llvm-project roc-6.4.0 25133 c7fe45cf4b819c5991fe208aaa96edf142730f1d)"
	.section	".note.GNU-stack","",@progbits
	.addrsig
	.addrsig_sym __hip_cuid_36f726ba0dc7d5d9
	.amdgpu_metadata
---
amdhsa.kernels:
  - .args:
      - .actual_access:  write_only
        .address_space:  global
        .offset:         0
        .size:           8
        .value_kind:     global_buffer
      - .actual_access:  read_only
        .address_space:  global
        .offset:         8
        .size:           8
        .value_kind:     global_buffer
      - .address_space:  global
        .offset:         16
        .size:           8
        .value_kind:     global_buffer
      - .offset:         24
        .size:           4
        .value_kind:     hidden_block_count_x
      - .offset:         28
        .size:           4
        .value_kind:     hidden_block_count_y
      - .offset:         32
        .size:           4
        .value_kind:     hidden_block_count_z
      - .offset:         36
        .size:           2
        .value_kind:     hidden_group_size_x
      - .offset:         38
        .size:           2
        .value_kind:     hidden_group_size_y
      - .offset:         40
        .size:           2
        .value_kind:     hidden_group_size_z
      - .offset:         42
        .size:           2
        .value_kind:     hidden_remainder_x
      - .offset:         44
        .size:           2
        .value_kind:     hidden_remainder_y
      - .offset:         46
        .size:           2
        .value_kind:     hidden_remainder_z
      - .offset:         64
        .size:           8
        .value_kind:     hidden_global_offset_x
      - .offset:         72
        .size:           8
        .value_kind:     hidden_global_offset_y
      - .offset:         80
        .size:           8
        .value_kind:     hidden_global_offset_z
      - .offset:         88
        .size:           2
        .value_kind:     hidden_grid_dims
    .group_segment_fixed_size: 1360
    .kernarg_segment_align: 8
    .kernarg_segment_size: 280
    .language:       OpenCL C
    .language_version:
      - 2
      - 0
    .max_flat_workgroup_size: 1024
    .name:           _Z11jacobi_stepPfPKfS_
    .private_segment_fixed_size: 0
    .sgpr_count:     18
    .sgpr_spill_count: 0
    .symbol:         _Z11jacobi_stepPfPKfS_.kd
    .uniform_work_group_size: 1
    .uses_dynamic_stack: false
    .vgpr_count:     14
    .vgpr_spill_count: 0
    .wavefront_size: 32
    .workgroup_processor_mode: 1
amdhsa.target:   amdgcn-amd-amdhsa--gfx1100
amdhsa.version:
  - 1
  - 2
...

	.end_amdgpu_metadata
